;; amdgpu-corpus repo=ROCm/rocFFT kind=compiled arch=gfx1030 opt=O3
	.text
	.amdgcn_target "amdgcn-amd-amdhsa--gfx1030"
	.amdhsa_code_object_version 6
	.protected	fft_rtc_back_len121_factors_11_11_wgs_121_tpt_11_dp_op_CI_CI_sbrc_z_xy_unaligned ; -- Begin function fft_rtc_back_len121_factors_11_11_wgs_121_tpt_11_dp_op_CI_CI_sbrc_z_xy_unaligned
	.globl	fft_rtc_back_len121_factors_11_11_wgs_121_tpt_11_dp_op_CI_CI_sbrc_z_xy_unaligned
	.p2align	8
	.type	fft_rtc_back_len121_factors_11_11_wgs_121_tpt_11_dp_op_CI_CI_sbrc_z_xy_unaligned,@function
fft_rtc_back_len121_factors_11_11_wgs_121_tpt_11_dp_op_CI_CI_sbrc_z_xy_unaligned: ; @fft_rtc_back_len121_factors_11_11_wgs_121_tpt_11_dp_op_CI_CI_sbrc_z_xy_unaligned
; %bb.0:
	s_load_dwordx8 s[8:15], s[4:5], 0x0
	s_waitcnt lgkmcnt(0)
	s_load_dwordx4 s[0:3], s[12:13], 0x8
	s_waitcnt lgkmcnt(0)
	s_add_i32 s1, s0, -1
	s_mul_hi_u32 s1, s1, 0xba2e8ba3
	s_lshr_b32 s1, s1, 3
	s_add_i32 s3, s1, 1
	s_mul_i32 s2, s3, s2
	v_cvt_f32_u32_e32 v2, s3
	v_cvt_f32_u32_e32 v1, s2
	s_sub_i32 s12, 0, s2
	v_rcp_iflag_f32_e32 v2, v2
	v_rcp_iflag_f32_e32 v1, v1
	v_mul_f32_e32 v1, 0x4f7ffffe, v1
	v_cvt_u32_f32_e32 v1, v1
	v_readfirstlane_b32 s7, v1
	v_mul_f32_e32 v1, 0x4f7ffffe, v2
	s_mul_i32 s12, s12, s7
	v_cvt_u32_f32_e32 v1, v1
	s_mul_hi_u32 s12, s7, s12
	s_add_i32 s7, s7, s12
	v_readfirstlane_b32 s17, v1
	s_mul_hi_u32 s7, s6, s7
	v_mul_u32_u24_e32 v1, 0x21e, v0
	s_mul_i32 s12, s7, s2
	s_add_i32 s13, s7, 1
	s_sub_i32 s12, s6, s12
	s_sub_i32 s16, s12, s2
	s_cmp_ge_u32 s12, s2
	v_lshrrev_b32_e32 v3, 16, v1
	s_cselect_b32 s7, s13, s7
	s_cselect_b32 s12, s16, s12
	s_add_i32 s13, s7, 1
	s_cmp_ge_u32 s12, s2
	v_mul_lo_u16 v1, 0x79, v3
	s_cselect_b32 s33, s13, s7
	s_not_b32 s1, s1
	s_mul_i32 s2, s33, s2
	s_mul_i32 s1, s1, s17
	s_sub_i32 s2, s6, s2
	s_mul_hi_u32 s1, s17, s1
	s_load_dword s13, s[14:15], 0x10
	s_add_i32 s1, s17, s1
	s_load_dwordx4 s[16:19], s[14:15], 0x0
	s_mul_hi_u32 s7, s2, s1
	s_mul_hi_u32 s1, s6, s1
	s_mul_i32 s12, s7, s3
	s_mul_i32 s1, s1, s3
	s_sub_i32 s2, s2, s12
	s_add_i32 s12, s7, 1
	s_waitcnt lgkmcnt(0)
	s_sub_i32 s19, s2, s3
	s_cmp_ge_u32 s2, s3
	v_sub_nc_u16 v1, v0, v1
	s_cselect_b32 s7, s12, s7
	s_cselect_b32 s2, s19, s2
	s_add_i32 s12, s7, 1
	s_cmp_ge_u32 s2, s3
	v_and_b32_e32 v4, 0xffff, v1
	s_cselect_b32 s46, s12, s7
	s_sub_i32 s1, s6, s1
	s_load_dwordx2 s[6:7], s[4:5], 0x20
	s_sub_i32 s2, s1, s3
	s_cmp_ge_u32 s1, s3
	s_cselect_b32 s1, s2, s1
	s_sub_i32 s2, s1, s3
	s_cmp_ge_u32 s1, s3
	s_cselect_b32 s47, s2, s1
	s_mul_i32 s1, s46, s13
	s_mul_i32 s47, s47, 11
	s_lshl_b64 s[22:23], s[10:11], 3
	s_mul_i32 s2, s47, s18
	s_add_i32 s1, s2, s1
	s_add_u32 s2, s14, s22
	s_addc_u32 s3, s15, s23
	s_load_dwordx2 s[20:21], s[2:3], 0x0
	s_load_dwordx2 s[10:11], s[4:5], 0x58
	s_waitcnt lgkmcnt(0)
	s_clause 0x1
	s_load_dwordx4 s[12:15], s[6:7], 0x0
	s_load_dwordx2 s[2:3], s[6:7], 0x10
	s_waitcnt lgkmcnt(0)
	s_mul_i32 s3, s21, s33
	s_mul_hi_u32 s15, s20, s33
	s_mul_i32 s19, s20, s33
	s_add_i32 s15, s15, s3
	s_add_u32 s20, s19, s1
	s_addc_u32 s21, s15, 0
	s_add_u32 s6, s6, s22
	s_addc_u32 s7, s7, s23
	s_add_i32 s1, s47, 11
	s_load_dwordx2 s[6:7], s[6:7], 0x0
	s_cmp_le_u32 s1, s0
	s_mov_b32 s1, -1
	s_cselect_b32 s3, -1, 0
	s_and_b32 vcc_lo, exec_lo, s3
	s_cbranch_vccnz .LBB0_5
; %bb.1:
	v_add_nc_u32_e32 v5, s47, v3
	s_mov_b32 s1, exec_lo
	v_cmpx_gt_u32_e64 s0, v5
	s_cbranch_execz .LBB0_4
; %bb.2:
	v_mad_u64_u32 v[1:2], null, s16, v4, 0
	s_lshl_b64 s[22:23], s[20:21], 4
	v_lshlrev_b32_e32 v9, 4, v4
	s_add_u32 s15, s10, s22
	s_addc_u32 s19, s11, s23
	v_mad_u64_u32 v[6:7], null, s17, v4, v[2:3]
	v_mov_b32_e32 v2, v6
	v_mul_u32_u24_e32 v6, 0x790, v3
	v_lshlrev_b64 v[7:8], 4, v[1:2]
	v_mul_lo_u32 v1, v3, s18
	v_add3_u32 v6, v6, v9, 0
	v_mov_b32_e32 v2, 0
	v_add_co_u32 v7, vcc_lo, s15, v7
	v_add_co_ci_u32_e32 v8, vcc_lo, s19, v8, vcc_lo
	s_mov_b32 s15, 0
	.p2align	6
.LBB0_3:                                ; =>This Inner Loop Header: Depth=1
	v_lshlrev_b64 v[9:10], 4, v[1:2]
	v_add_nc_u32_e32 v5, 1, v5
	v_add_nc_u32_e32 v1, s18, v1
	v_add_co_u32 v9, vcc_lo, v7, v9
	v_add_co_ci_u32_e32 v10, vcc_lo, v8, v10, vcc_lo
	v_cmp_le_u32_e32 vcc_lo, s0, v5
	global_load_dwordx4 v[9:12], v[9:10], off
	s_or_b32 s15, vcc_lo, s15
	s_waitcnt vmcnt(0)
	ds_write_b128 v6, v[9:12]
	v_add_nc_u32_e32 v6, 0x790, v6
	s_andn2_b32 exec_lo, exec_lo, s15
	s_cbranch_execnz .LBB0_3
.LBB0_4:
	s_or_b32 exec_lo, exec_lo, s1
	s_mov_b32 s1, 0
.LBB0_5:
	s_andn2_b32 vcc_lo, exec_lo, s1
	s_cbranch_vccnz .LBB0_7
; %bb.6:
	v_mad_u64_u32 v[1:2], null, s16, v4, 0
	v_mul_lo_u32 v29, s18, v3
	v_mov_b32_e32 v30, 0
	v_mad_u64_u32 v[7:8], null, s17, v4, v[2:3]
	v_lshlrev_b64 v[5:6], 4, v[29:30]
	v_add_nc_u32_e32 v29, s18, v29
	s_lshl_b64 s[16:17], s[20:21], 4
	s_add_u32 s1, s10, s16
	s_addc_u32 s10, s11, s17
	v_mov_b32_e32 v2, v7
	v_lshlrev_b64 v[8:9], 4, v[29:30]
	v_add_nc_u32_e32 v29, s18, v29
	v_lshlrev_b64 v[1:2], 4, v[1:2]
	v_lshlrev_b64 v[10:11], 4, v[29:30]
	v_add_nc_u32_e32 v29, s18, v29
	v_add_co_u32 v39, vcc_lo, s1, v1
	v_add_co_ci_u32_e32 v40, vcc_lo, s10, v2, vcc_lo
	v_lshlrev_b64 v[13:14], 4, v[29:30]
	v_add_co_u32 v1, vcc_lo, v39, v5
	v_add_nc_u32_e32 v29, s18, v29
	v_add_co_ci_u32_e32 v2, vcc_lo, v40, v6, vcc_lo
	v_add_co_u32 v17, vcc_lo, v39, v8
	v_add_co_ci_u32_e32 v18, vcc_lo, v40, v9, vcc_lo
	v_lshlrev_b64 v[15:16], 4, v[29:30]
	v_add_nc_u32_e32 v29, s18, v29
	v_add_co_u32 v19, vcc_lo, v39, v10
	v_add_co_ci_u32_e32 v20, vcc_lo, v40, v11, vcc_lo
	s_clause 0x1
	global_load_dwordx4 v[5:8], v[1:2], off
	global_load_dwordx4 v[9:12], v[17:18], off
	v_add_co_u32 v1, vcc_lo, v39, v13
	v_add_co_ci_u32_e32 v2, vcc_lo, v40, v14, vcc_lo
	v_lshlrev_b64 v[13:14], 4, v[29:30]
	v_add_nc_u32_e32 v29, s18, v29
	v_add_co_u32 v21, vcc_lo, v39, v15
	v_add_co_ci_u32_e32 v22, vcc_lo, v40, v16, vcc_lo
	v_lshlrev_b64 v[31:32], 4, v[29:30]
	v_add_nc_u32_e32 v29, s18, v29
	v_add_co_u32 v25, vcc_lo, v39, v13
	v_add_co_ci_u32_e32 v26, vcc_lo, v40, v14, vcc_lo
	s_clause 0x3
	global_load_dwordx4 v[13:16], v[19:20], off
	global_load_dwordx4 v[17:20], v[1:2], off
	;; [unrolled: 1-line block ×4, first 2 shown]
	v_lshlrev_b64 v[1:2], 4, v[29:30]
	v_add_nc_u32_e32 v29, s18, v29
	v_add_co_u32 v31, vcc_lo, v39, v31
	v_add_co_ci_u32_e32 v32, vcc_lo, v40, v32, vcc_lo
	v_lshlrev_b64 v[33:34], 4, v[29:30]
	v_add_nc_u32_e32 v29, s18, v29
	v_add_co_u32 v1, vcc_lo, v39, v1
	v_add_co_ci_u32_e32 v2, vcc_lo, v40, v2, vcc_lo
	v_lshlrev_b64 v[35:36], 4, v[29:30]
	v_add_nc_u32_e32 v29, s18, v29
	v_add_co_u32 v37, vcc_lo, v39, v33
	v_add_co_ci_u32_e32 v38, vcc_lo, v40, v34, vcc_lo
	v_lshlrev_b64 v[29:30], 4, v[29:30]
	v_add_co_u32 v41, vcc_lo, v39, v35
	v_add_co_ci_u32_e32 v42, vcc_lo, v40, v36, vcc_lo
	v_add_co_u32 v45, vcc_lo, v39, v29
	v_add_co_ci_u32_e32 v46, vcc_lo, v40, v30, vcc_lo
	s_clause 0x4
	global_load_dwordx4 v[29:32], v[31:32], off
	global_load_dwordx4 v[33:36], v[1:2], off
	;; [unrolled: 1-line block ×5, first 2 shown]
	v_mul_u32_u24_e32 v1, 0x790, v3
	v_lshlrev_b32_e32 v2, 4, v4
	v_add3_u32 v1, 0, v1, v2
	v_add_nc_u32_e32 v2, 0x1800, v1
	v_add_nc_u32_e32 v3, 0x2000, v1
	;; [unrolled: 1-line block ×3, first 2 shown]
	s_waitcnt vmcnt(10)
	ds_write_b128 v1, v[5:8]
	v_add_nc_u32_e32 v5, 0x4000, v1
	s_waitcnt vmcnt(9)
	ds_write_b128 v1, v[9:12] offset:1936
	s_waitcnt vmcnt(8)
	ds_write_b128 v1, v[13:16] offset:3872
	;; [unrolled: 2-line block ×3, first 2 shown]
	s_waitcnt vmcnt(6)
	ds_write2_b64 v2, v[21:22], v[23:24] offset0:200 offset1:201
	s_waitcnt vmcnt(5)
	ds_write2_b64 v3, v[25:26], v[27:28] offset0:186 offset1:187
	v_add_nc_u32_e32 v2, 0x2800, v1
	v_add_nc_u32_e32 v3, 0x3000, v1
	v_add_nc_u32_e32 v1, 0x4800, v1
	s_waitcnt vmcnt(4)
	ds_write2_b64 v2, v[29:30], v[31:32] offset0:172 offset1:173
	s_waitcnt vmcnt(3)
	ds_write2_b64 v3, v[33:34], v[35:36] offset0:158 offset1:159
	;; [unrolled: 2-line block ×5, first 2 shown]
.LBB0_7:
	v_mov_b32_e32 v1, 0x1746
	v_mul_hi_u32 v3, 0x1745d175, v0
	s_waitcnt lgkmcnt(0)
	s_barrier
	buffer_gl0_inv
	v_mul_u32_u24_sdwa v1, v0, v1 dst_sel:DWORD dst_unused:UNUSED_PAD src0_sel:WORD_0 src1_sel:DWORD
	s_mov_b32 s10, 0xf8bb580b
	s_mov_b32 s24, 0x8764f0ba
	;; [unrolled: 1-line block ×3, first 2 shown]
	v_mul_u32_u24_e32 v3, 11, v3
	v_lshrrev_b32_e32 v44, 16, v1
	s_mov_b32 s11, 0xbfe14ced
	s_mov_b32 s25, 0x3feaeb8c
	;; [unrolled: 1-line block ×3, first 2 shown]
	v_sub_nc_u32_e32 v45, v0, v3
	v_add_nc_u32_e32 v1, s47, v44
	s_mov_b32 s16, 0x8eee2c13
	s_mov_b32 s17, 0xbfed1bb4
	;; [unrolled: 1-line block ×4, first 2 shown]
	v_mul_hi_u32 v2, 0xba2e8ba3, v1
	s_mov_b32 s22, 0xfd768dbf
	s_mov_b32 s30, 0x640f44db
	;; [unrolled: 1-line block ×7, first 2 shown]
	v_lshrrev_b32_e32 v2, 3, v2
	s_mov_b32 s29, 0xbfe4f49e
	s_mov_b32 s36, 0x9bcd5057
	;; [unrolled: 1-line block ×4, first 2 shown]
	v_mul_lo_u32 v2, v2, 11
	s_mov_b32 s39, 0x3fed1bb4
	s_mov_b32 s34, s10
	;; [unrolled: 1-line block ×7, first 2 shown]
	v_sub_nc_u32_e32 v1, v1, v2
	s_mov_b32 s41, 0x3fe82f19
	s_mov_b32 s40, s20
	v_add_nc_u32_e32 v237, s47, v45
	s_mov_b32 s1, 0
	v_mul_u32_u24_e32 v0, 0x79, v1
	v_lshlrev_b32_e32 v1, 4, v45
	v_cmp_gt_u32_e32 vcc_lo, s0, v237
	v_lshlrev_b32_e32 v0, 4, v0
	s_or_b32 s0, s3, vcc_lo
	v_add3_u32 v34, 0, v0, v1
	v_add3_u32 v46, 0, v1, v0
	ds_read_b128 v[8:11], v34
	ds_read_b128 v[35:38], v46 offset:176
	ds_read_b128 v[0:3], v46 offset:1760
	;; [unrolled: 1-line block ×10, first 2 shown]
	s_waitcnt lgkmcnt(0)
	s_barrier
	buffer_gl0_inv
	v_add_f64 v[32:33], v[8:9], v[35:36]
	v_add_f64 v[67:68], v[10:11], v[37:38]
	v_add_f64 v[69:70], v[37:38], -v[2:3]
	v_add_f64 v[71:72], v[39:40], v[4:5]
	v_add_f64 v[73:74], v[41:42], v[6:7]
	v_add_f64 v[75:76], v[39:40], -v[4:5]
	v_add_f64 v[77:78], v[41:42], -v[6:7]
	v_add_f64 v[37:38], v[37:38], v[2:3]
	v_add_f64 v[87:88], v[35:36], v[0:1]
	v_add_f64 v[35:36], v[35:36], -v[0:1]
	v_add_f64 v[79:80], v[49:50], v[14:15]
	v_add_f64 v[81:82], v[49:50], -v[14:15]
	;; [unrolled: 2-line block ×5, first 2 shown]
	v_add_f64 v[16:17], v[59:60], v[63:64]
	v_add_f64 v[24:25], v[61:62], v[65:66]
	v_add_f64 v[26:27], v[61:62], -v[65:66]
	v_add_f64 v[18:19], v[59:60], -v[63:64]
	v_add_f64 v[39:40], v[32:33], v[39:40]
	v_add_f64 v[41:42], v[67:68], v[41:42]
	v_mul_f64 v[67:68], v[69:70], s[10:11]
	v_mul_f64 v[89:90], v[69:70], s[16:17]
	;; [unrolled: 1-line block ×20, first 2 shown]
	v_add_f64 v[39:40], v[39:40], v[47:48]
	v_add_f64 v[41:42], v[41:42], v[49:50]
	v_fma_f64 v[157:158], v[87:88], s[24:25], v[67:68]
	v_fma_f64 v[159:160], v[87:88], s[26:27], v[89:90]
	v_fma_f64 v[67:68], v[87:88], s[24:25], -v[67:68]
	v_fma_f64 v[89:90], v[87:88], s[26:27], -v[89:90]
	v_fma_f64 v[161:162], v[87:88], s[30:31], v[91:92]
	v_fma_f64 v[163:164], v[35:36], s[34:35], v[95:96]
	;; [unrolled: 1-line block ×3, first 2 shown]
	v_fma_f64 v[91:92], v[87:88], s[30:31], -v[91:92]
	v_fma_f64 v[165:166], v[87:88], s[28:29], v[93:94]
	v_fma_f64 v[93:94], v[87:88], s[28:29], -v[93:94]
	v_fma_f64 v[169:170], v[87:88], s[36:37], v[69:70]
	;; [unrolled: 2-line block ×3, first 2 shown]
	v_fma_f64 v[95:96], v[35:36], s[10:11], v[95:96]
	v_fma_f64 v[97:98], v[35:36], s[16:17], v[97:98]
	;; [unrolled: 1-line block ×5, first 2 shown]
	v_mul_f64 v[107:108], v[81:82], s[18:19]
	v_mul_f64 v[109:110], v[79:80], s[30:31]
	v_add_f64 v[39:40], v[39:40], v[55:56]
	v_add_f64 v[41:42], v[41:42], v[57:58]
	v_fma_f64 v[55:56], v[35:36], s[40:41], v[101:102]
	v_fma_f64 v[57:58], v[35:36], s[20:21], v[101:102]
	;; [unrolled: 1-line block ×5, first 2 shown]
	v_add_f64 v[157:158], v[8:9], v[157:158]
	v_add_f64 v[163:164], v[10:11], v[163:164]
	;; [unrolled: 1-line block ×3, first 2 shown]
	v_mul_f64 v[121:122], v[81:82], s[44:45]
	v_mul_f64 v[123:124], v[79:80], s[36:37]
	v_fma_f64 v[173:174], v[71:72], s[28:29], v[117:118]
	v_add_f64 v[159:160], v[8:9], v[159:160]
	v_mul_f64 v[137:138], v[81:82], s[38:39]
	v_mul_f64 v[139:140], v[79:80], s[26:27]
	v_fma_f64 v[177:178], v[71:72], s[36:37], v[133:134]
	v_fma_f64 v[179:180], v[75:76], s[22:23], v[135:136]
	v_add_f64 v[161:162], v[8:9], v[161:162]
	v_add_f64 v[87:88], v[10:11], v[87:88]
	v_mul_f64 v[149:150], v[81:82], s[10:11]
	v_mul_f64 v[151:152], v[79:80], s[24:25]
	v_add_f64 v[39:40], v[39:40], v[59:60]
	v_add_f64 v[41:42], v[41:42], v[61:62]
	v_fma_f64 v[181:182], v[71:72], s[30:31], v[143:144]
	v_fma_f64 v[183:184], v[75:76], s[18:19], v[145:146]
	v_add_f64 v[165:166], v[8:9], v[165:166]
	v_add_f64 v[55:56], v[10:11], v[55:56]
	v_mul_f64 v[81:82], v[81:82], s[20:21]
	v_mul_f64 v[79:80], v[79:80], s[28:29]
	v_fma_f64 v[143:144], v[71:72], s[30:31], -v[143:144]
	v_fma_f64 v[145:146], v[75:76], s[42:43], v[145:146]
	v_fma_f64 v[185:186], v[71:72], s[24:25], v[77:78]
	v_fma_f64 v[77:78], v[71:72], s[24:25], -v[77:78]
	v_fma_f64 v[103:104], v[71:72], s[26:27], -v[103:104]
	;; [unrolled: 1-line block ×4, first 2 shown]
	v_fma_f64 v[133:134], v[75:76], s[10:11], v[73:74]
	v_add_f64 v[37:38], v[37:38], v[157:158]
	v_add_f64 v[157:158], v[171:172], v[163:164]
	;; [unrolled: 1-line block ×9, first 2 shown]
	v_fma_f64 v[59:60], v[75:76], s[34:35], v[73:74]
	v_fma_f64 v[61:62], v[75:76], s[16:17], v[105:106]
	;; [unrolled: 1-line block ×4, first 2 shown]
	v_add_f64 v[69:70], v[8:9], v[69:70]
	v_add_f64 v[35:36], v[10:11], v[35:36]
	;; [unrolled: 1-line block ×4, first 2 shown]
	v_mul_f64 v[111:112], v[85:86], s[20:21]
	v_mul_f64 v[113:114], v[83:84], s[28:29]
	v_fma_f64 v[105:106], v[28:29], s[30:31], v[107:108]
	v_fma_f64 v[119:120], v[30:31], s[42:43], v[109:110]
	v_mul_f64 v[125:126], v[85:86], s[42:43]
	v_mul_f64 v[127:128], v[83:84], s[30:31]
	v_fma_f64 v[135:136], v[28:29], s[36:37], v[121:122]
	v_fma_f64 v[187:188], v[30:31], s[22:23], v[123:124]
	v_add_f64 v[159:160], v[173:174], v[159:160]
	v_mul_f64 v[141:142], v[85:86], s[10:11]
	v_mul_f64 v[147:148], v[83:84], s[24:25]
	v_add_f64 v[39:40], v[39:40], v[51:52]
	v_add_f64 v[41:42], v[41:42], v[53:54]
	v_fma_f64 v[189:190], v[28:29], s[26:27], v[137:138]
	v_fma_f64 v[191:192], v[30:31], s[16:17], v[139:140]
	v_add_f64 v[161:162], v[177:178], v[161:162]
	v_add_f64 v[87:88], v[179:180], v[87:88]
	v_mul_f64 v[47:48], v[85:86], s[22:23]
	v_mul_f64 v[49:50], v[83:84], s[36:37]
	v_fma_f64 v[193:194], v[28:29], s[24:25], v[149:150]
	v_fma_f64 v[195:196], v[30:31], s[34:35], v[151:152]
	v_add_f64 v[165:166], v[181:182], v[165:166]
	v_add_f64 v[55:56], v[183:184], v[55:56]
	v_fma_f64 v[51:52], v[28:29], s[24:25], -v[149:150]
	v_fma_f64 v[53:54], v[30:31], s[10:11], v[151:152]
	v_fma_f64 v[149:150], v[28:29], s[28:29], v[81:82]
	;; [unrolled: 1-line block ×3, first 2 shown]
	v_add_f64 v[57:58], v[145:146], v[57:58]
	v_add_f64 v[69:70], v[77:78], v[69:70]
	v_add_f64 v[35:36], v[59:60], v[35:36]
	v_add_f64 v[59:60], v[103:104], v[67:68]
	v_add_f64 v[61:62], v[61:62], v[95:96]
	v_fma_f64 v[81:82], v[28:29], s[28:29], -v[81:82]
	v_add_f64 v[12:13], v[39:40], v[12:13]
	v_add_f64 v[14:15], v[41:42], v[14:15]
	v_add_f64 v[39:40], v[8:9], v[89:90]
	v_add_f64 v[41:42], v[10:11], v[97:98]
	v_add_f64 v[8:9], v[8:9], v[91:92]
	v_add_f64 v[10:11], v[10:11], v[99:100]
	v_add_f64 v[89:90], v[143:144], v[93:94]
	v_add_f64 v[91:92], v[185:186], v[167:168]
	v_add_f64 v[93:94], v[133:134], v[101:102]
	v_fma_f64 v[79:80], v[30:31], s[20:21], v[79:80]
	v_mul_f64 v[32:33], v[26:27], s[22:23]
	v_mul_f64 v[115:116], v[24:25], s[36:37]
	v_fma_f64 v[197:198], v[20:21], s[28:29], v[111:112]
	v_fma_f64 v[199:200], v[22:23], s[40:41], v[113:114]
	v_add_f64 v[37:38], v[105:106], v[37:38]
	v_add_f64 v[105:106], v[119:120], v[157:158]
	v_mul_f64 v[129:130], v[26:27], s[34:35]
	v_mul_f64 v[131:132], v[24:25], s[24:25]
	v_fma_f64 v[63:64], v[20:21], s[30:31], v[125:126]
	v_fma_f64 v[65:66], v[22:23], s[18:19], v[127:128]
	v_add_f64 v[119:120], v[135:136], v[159:160]
	v_add_f64 v[135:136], v[187:188], v[163:164]
	;; [unrolled: 1-line block ×4, first 2 shown]
	v_mul_f64 v[12:13], v[85:86], s[38:39]
	v_mul_f64 v[14:15], v[83:84], s[26:27]
	v_add_f64 v[41:42], v[73:74], v[41:42]
	v_add_f64 v[8:9], v[71:72], v[8:9]
	v_add_f64 v[10:11], v[75:76], v[10:11]
	v_fma_f64 v[71:72], v[28:29], s[30:31], -v[107:108]
	v_fma_f64 v[73:74], v[30:31], s[18:19], v[109:110]
	v_fma_f64 v[75:76], v[28:29], s[36:37], -v[121:122]
	v_fma_f64 v[83:84], v[30:31], s[44:45], v[123:124]
	;; [unrolled: 2-line block ×3, first 2 shown]
	v_add_f64 v[39:40], v[117:118], v[39:40]
	v_mul_f64 v[153:154], v[26:27], s[20:21]
	v_mul_f64 v[155:156], v[24:25], s[28:29]
	v_fma_f64 v[201:202], v[20:21], s[24:25], v[141:142]
	v_fma_f64 v[203:204], v[22:23], s[34:35], v[147:148]
	v_add_f64 v[157:158], v[189:190], v[161:162]
	v_add_f64 v[87:88], v[191:192], v[87:88]
	v_fma_f64 v[217:218], v[20:21], s[36:37], v[47:48]
	v_fma_f64 v[219:220], v[22:23], s[44:45], v[49:50]
	v_add_f64 v[67:68], v[193:194], v[165:166]
	v_add_f64 v[55:56], v[195:196], v[55:56]
	v_mul_f64 v[85:86], v[26:27], s[38:39]
	v_mul_f64 v[97:98], v[24:25], s[26:27]
	v_add_f64 v[51:52], v[51:52], v[89:90]
	v_add_f64 v[53:54], v[53:54], v[57:58]
	v_fma_f64 v[47:48], v[20:21], s[36:37], -v[47:48]
	v_add_f64 v[57:58], v[149:150], v[91:92]
	v_add_f64 v[89:90], v[151:152], v[93:94]
	v_fma_f64 v[91:92], v[20:21], s[26:27], v[12:13]
	v_fma_f64 v[93:94], v[22:23], s[16:17], v[14:15]
	v_mul_f64 v[26:27], v[26:27], s[18:19]
	v_mul_f64 v[24:25], v[24:25], s[30:31]
	v_fma_f64 v[49:50], v[22:23], s[22:23], v[49:50]
	v_add_f64 v[69:70], v[81:82], v[69:70]
	v_add_f64 v[35:36], v[79:80], v[35:36]
	v_fma_f64 v[12:13], v[20:21], s[26:27], -v[12:13]
	v_fma_f64 v[14:15], v[22:23], s[38:39], v[14:15]
	v_add_f64 v[59:60], v[71:72], v[59:60]
	v_add_f64 v[61:62], v[73:74], v[61:62]
	;; [unrolled: 1-line block ×4, first 2 shown]
	v_fma_f64 v[28:29], v[20:21], s[28:29], -v[111:112]
	v_fma_f64 v[30:31], v[22:23], s[20:21], v[113:114]
	v_add_f64 v[39:40], v[75:76], v[39:40]
	v_add_f64 v[41:42], v[83:84], v[41:42]
	v_fma_f64 v[71:72], v[20:21], s[30:31], -v[125:126]
	v_fma_f64 v[73:74], v[22:23], s[42:43], v[127:128]
	v_fma_f64 v[20:21], v[20:21], s[24:25], -v[141:142]
	v_fma_f64 v[22:23], v[22:23], s[10:11], v[147:148]
	v_fma_f64 v[205:206], v[16:17], s[36:37], v[32:33]
	;; [unrolled: 1-line block ×3, first 2 shown]
	v_add_f64 v[37:38], v[197:198], v[37:38]
	v_add_f64 v[77:78], v[199:200], v[105:106]
	v_fma_f64 v[209:210], v[16:17], s[24:25], v[129:130]
	v_fma_f64 v[211:212], v[18:19], s[10:11], v[131:132]
	v_add_f64 v[63:64], v[63:64], v[119:120]
	v_add_f64 v[65:66], v[65:66], v[135:136]
	v_fma_f64 v[213:214], v[16:17], s[28:29], v[153:154]
	v_fma_f64 v[215:216], v[18:19], s[40:41], v[155:156]
	v_add_f64 v[95:96], v[201:202], v[157:158]
	v_add_f64 v[87:88], v[203:204], v[87:88]
	;; [unrolled: 1-line block ×4, first 2 shown]
	v_fma_f64 v[75:76], v[16:17], s[26:27], v[85:86]
	v_fma_f64 v[79:80], v[18:19], s[16:17], v[97:98]
	v_add_f64 v[47:48], v[47:48], v[51:52]
	v_fma_f64 v[51:52], v[16:17], s[26:27], -v[85:86]
	v_add_f64 v[57:58], v[91:92], v[57:58]
	v_add_f64 v[81:82], v[93:94], v[89:90]
	v_fma_f64 v[83:84], v[16:17], s[30:31], v[26:27]
	v_fma_f64 v[85:86], v[18:19], s[42:43], v[24:25]
	v_add_f64 v[49:50], v[49:50], v[53:54]
	v_fma_f64 v[53:54], v[18:19], s[38:39], v[97:98]
	v_add_f64 v[69:70], v[12:13], v[69:70]
	v_add_f64 v[35:36], v[14:15], v[35:36]
	v_fma_f64 v[89:90], v[16:17], s[30:31], -v[26:27]
	v_fma_f64 v[91:92], v[18:19], s[18:19], v[24:25]
	v_add_f64 v[59:60], v[28:29], v[59:60]
	v_add_f64 v[61:62], v[30:31], v[61:62]
	v_fma_f64 v[32:33], v[16:17], s[36:37], -v[32:33]
	v_fma_f64 v[103:104], v[18:19], s[22:23], v[115:116]
	v_add_f64 v[39:40], v[71:72], v[39:40]
	v_add_f64 v[71:72], v[73:74], v[41:42]
	;; [unrolled: 1-line block ×4, first 2 shown]
	v_fma_f64 v[93:94], v[16:17], s[24:25], -v[129:130]
	v_fma_f64 v[97:98], v[16:17], s[28:29], -v[153:154]
	v_fma_f64 v[99:100], v[18:19], s[20:21], v[155:156]
	v_fma_f64 v[101:102], v[18:19], s[34:35], v[131:132]
	v_add_f64 v[0:1], v[4:5], v[0:1]
	v_add_f64 v[2:3], v[6:7], v[2:3]
	;; [unrolled: 1-line block ×22, first 2 shown]
	v_mad_u32_u24 v32, 0xa0, v45, v46
	ds_write_b128 v32, v[0:3]
	ds_write_b128 v32, v[4:7] offset:16
	ds_write_b128 v32, v[8:11] offset:32
	;; [unrolled: 1-line block ×5, first 2 shown]
	v_mul_u32_u24_e32 v0, 10, v45
	ds_write_b128 v32, v[28:31] offset:96
	ds_write_b128 v32, v[20:23] offset:112
	;; [unrolled: 1-line block ×4, first 2 shown]
	v_lshlrev_b32_e32 v0, 4, v0
	ds_write_b128 v32, v[47:50] offset:160
	s_waitcnt lgkmcnt(0)
	s_barrier
	buffer_gl0_inv
	s_clause 0x9
	global_load_dwordx4 v[6:9], v0, s[8:9]
	global_load_dwordx4 v[10:13], v0, s[8:9] offset:144
	global_load_dwordx4 v[14:17], v0, s[8:9] offset:16
	;; [unrolled: 1-line block ×9, first 2 shown]
	ds_read_b128 v[38:41], v46 offset:176
	ds_read_b128 v[59:62], v46 offset:1760
	;; [unrolled: 1-line block ×10, first 2 shown]
	ds_read_b128 v[0:3], v34
	s_waitcnt vmcnt(0) lgkmcnt(0)
	s_barrier
	buffer_gl0_inv
	v_mul_f64 v[4:5], v[38:39], v[8:9]
	v_mul_f64 v[34:35], v[59:60], v[12:13]
	;; [unrolled: 1-line block ×20, first 2 shown]
	v_fma_f64 v[40:41], v[40:41], v[6:7], -v[4:5]
	v_fma_f64 v[4:5], v[61:62], v[10:11], -v[34:35]
	;; [unrolled: 1-line block ×3, first 2 shown]
	v_fma_f64 v[42:43], v[38:39], v[6:7], v[99:100]
	v_fma_f64 v[6:7], v[59:60], v[10:11], v[101:102]
	v_fma_f64 v[36:37], v[65:66], v[14:15], -v[36:37]
	v_fma_f64 v[38:39], v[63:64], v[14:15], v[16:17]
	v_fma_f64 v[10:11], v[67:68], v[18:19], v[20:21]
	v_fma_f64 v[16:17], v[85:86], v[47:48], -v[107:108]
	v_fma_f64 v[18:19], v[83:84], v[47:48], v[49:50]
	v_fma_f64 v[32:33], v[73:74], v[22:23], -v[95:96]
	v_fma_f64 v[12:13], v[77:78], v[26:27], -v[97:98]
	v_fma_f64 v[34:35], v[71:72], v[22:23], v[24:25]
	v_fma_f64 v[14:15], v[75:76], v[26:27], v[28:29]
	;; [unrolled: 1-line block ×3, first 2 shown]
	v_fma_f64 v[26:27], v[89:90], v[51:52], -v[53:54]
	v_fma_f64 v[28:29], v[79:80], v[30:31], v[103:104]
	v_fma_f64 v[30:31], v[81:82], v[30:31], -v[105:106]
	v_fma_f64 v[20:21], v[93:94], v[55:56], -v[111:112]
	v_fma_f64 v[22:23], v[91:92], v[55:56], v[57:58]
	v_add_f64 v[47:48], v[40:41], -v[4:5]
	v_add_f64 v[49:50], v[40:41], v[4:5]
	v_add_f64 v[40:41], v[2:3], v[40:41]
	;; [unrolled: 1-line block ×3, first 2 shown]
	v_add_f64 v[61:62], v[42:43], -v[6:7]
	v_add_f64 v[42:43], v[0:1], v[42:43]
	v_add_f64 v[51:52], v[36:37], -v[8:9]
	v_add_f64 v[53:54], v[36:37], v[8:9]
	v_add_f64 v[63:64], v[38:39], v[10:11]
	v_add_f64 v[65:66], v[38:39], -v[10:11]
	v_add_f64 v[55:56], v[32:33], -v[12:13]
	v_add_f64 v[57:58], v[32:33], v[12:13]
	v_add_f64 v[67:68], v[34:35], v[14:15]
	v_add_f64 v[69:70], v[34:35], -v[14:15]
	v_add_f64 v[73:74], v[28:29], v[18:19]
	v_add_f64 v[71:72], v[30:31], -v[16:17]
	;; [unrolled: 2-line block ×4, first 2 shown]
	v_mul_f64 v[87:88], v[47:48], s[10:11]
	v_mul_f64 v[89:90], v[47:48], s[16:17]
	v_add_f64 v[36:37], v[40:41], v[36:37]
	v_mul_f64 v[91:92], v[47:48], s[18:19]
	v_mul_f64 v[93:94], v[47:48], s[20:21]
	;; [unrolled: 1-line block ×3, first 2 shown]
	v_add_f64 v[38:39], v[42:43], v[38:39]
	v_mul_f64 v[95:96], v[49:50], s[24:25]
	v_mul_f64 v[97:98], v[49:50], s[26:27]
	;; [unrolled: 1-line block ×7, first 2 shown]
	v_add_f64 v[81:82], v[24:25], v[22:23]
	v_add_f64 v[85:86], v[24:25], -v[22:23]
	v_mul_f64 v[107:108], v[55:56], s[18:19]
	v_mul_f64 v[109:110], v[57:58], s[30:31]
	;; [unrolled: 1-line block ×6, first 2 shown]
	v_fma_f64 v[163:164], v[59:60], s[24:25], v[87:88]
	v_fma_f64 v[87:88], v[59:60], s[24:25], -v[87:88]
	v_add_f64 v[32:33], v[36:37], v[32:33]
	v_fma_f64 v[165:166], v[59:60], s[26:27], v[89:90]
	v_fma_f64 v[89:90], v[59:60], s[26:27], -v[89:90]
	v_fma_f64 v[167:168], v[59:60], s[30:31], v[91:92]
	v_add_f64 v[34:35], v[38:39], v[34:35]
	v_fma_f64 v[91:92], v[59:60], s[30:31], -v[91:92]
	v_fma_f64 v[169:170], v[59:60], s[28:29], v[93:94]
	v_fma_f64 v[93:94], v[59:60], s[28:29], -v[93:94]
	v_fma_f64 v[171:172], v[59:60], s[36:37], v[47:48]
	v_fma_f64 v[47:48], v[59:60], s[36:37], -v[47:48]
	v_fma_f64 v[59:60], v[61:62], s[34:35], v[95:96]
	v_mul_f64 v[119:120], v[51:52], s[44:45]
	v_mul_f64 v[121:122], v[53:54], s[36:37]
	;; [unrolled: 1-line block ×11, first 2 shown]
	v_add_f64 v[30:31], v[32:33], v[30:31]
	v_mul_f64 v[57:58], v[57:58], s[28:29]
	v_mul_f64 v[40:41], v[71:72], s[20:21]
	;; [unrolled: 1-line block ×3, first 2 shown]
	v_add_f64 v[28:29], v[34:35], v[28:29]
	v_mul_f64 v[135:136], v[71:72], s[10:11]
	v_mul_f64 v[137:138], v[71:72], s[22:23]
	;; [unrolled: 1-line block ×18, first 2 shown]
	v_fma_f64 v[95:96], v[61:62], s[10:11], v[95:96]
	v_fma_f64 v[173:174], v[61:62], s[38:39], v[97:98]
	;; [unrolled: 1-line block ×9, first 2 shown]
	v_add_f64 v[24:25], v[28:29], v[24:25]
	v_add_f64 v[26:27], v[30:31], v[26:27]
	v_fma_f64 v[61:62], v[63:64], s[26:27], v[103:104]
	v_fma_f64 v[181:182], v[65:66], s[38:39], v[105:106]
	v_add_f64 v[28:29], v[0:1], v[163:164]
	v_add_f64 v[30:31], v[2:3], v[59:60]
	v_fma_f64 v[183:184], v[67:68], s[30:31], v[107:108]
	v_fma_f64 v[103:104], v[63:64], s[26:27], -v[103:104]
	v_fma_f64 v[105:106], v[65:66], s[16:17], v[105:106]
	v_fma_f64 v[107:108], v[67:68], s[30:31], -v[107:108]
	v_fma_f64 v[185:186], v[63:64], s[28:29], v[111:112]
	v_fma_f64 v[187:188], v[65:66], s[40:41], v[113:114]
	;; [unrolled: 1-line block ×9, first 2 shown]
	v_fma_f64 v[127:128], v[63:64], s[30:31], -v[127:128]
	v_fma_f64 v[129:130], v[65:66], s[42:43], v[129:130]
	v_fma_f64 v[131:132], v[67:68], s[24:25], -v[131:132]
	v_fma_f64 v[36:37], v[63:64], s[24:25], v[51:52]
	v_fma_f64 v[51:52], v[63:64], s[24:25], -v[51:52]
	v_fma_f64 v[111:112], v[63:64], s[28:29], -v[111:112]
	;; [unrolled: 1-line block ×3, first 2 shown]
	v_fma_f64 v[119:120], v[65:66], s[10:11], v[53:54]
	v_fma_f64 v[53:54], v[65:66], s[34:35], v[53:54]
	;; [unrolled: 1-line block ×5, first 2 shown]
	v_fma_f64 v[55:56], v[67:68], s[28:29], -v[55:56]
	v_fma_f64 v[115:116], v[67:68], s[36:37], -v[115:116]
	v_fma_f64 v[67:68], v[67:68], s[26:27], -v[123:124]
	v_fma_f64 v[123:124], v[69:70], s[42:43], v[109:110]
	v_fma_f64 v[109:110], v[69:70], s[18:19], v[109:110]
	;; [unrolled: 1-line block ×11, first 2 shown]
	v_fma_f64 v[40:41], v[73:74], s[28:29], -v[40:41]
	v_fma_f64 v[209:210], v[73:74], s[36:37], v[137:138]
	v_fma_f64 v[137:138], v[73:74], s[36:37], -v[137:138]
	v_fma_f64 v[211:212], v[73:74], s[26:27], v[71:72]
	v_fma_f64 v[71:72], v[73:74], s[26:27], -v[71:72]
	v_fma_f64 v[213:214], v[73:74], s[30:31], v[42:43]
	v_fma_f64 v[42:43], v[73:74], s[30:31], -v[42:43]
	v_fma_f64 v[215:216], v[73:74], s[24:25], v[135:136]
	v_fma_f64 v[73:74], v[73:74], s[24:25], -v[135:136]
	v_fma_f64 v[135:136], v[77:78], s[40:41], v[139:140]
	v_fma_f64 v[139:140], v[77:78], s[20:21], v[139:140]
	v_fma_f64 v[217:218], v[77:78], s[44:45], v[145:146]
	;; [unrolled: 1-line block ×10, first 2 shown]
	v_fma_f64 v[34:35], v[81:82], s[36:37], -v[147:148]
	v_fma_f64 v[143:144], v[81:82], s[26:27], v[153:154]
	v_fma_f64 v[147:148], v[81:82], s[26:27], -v[153:154]
	v_fma_f64 v[153:154], v[81:82], s[30:31], v[79:80]
	;; [unrolled: 2-line block ×5, first 2 shown]
	v_fma_f64 v[155:156], v[85:86], s[22:23], v[155:156]
	v_fma_f64 v[229:230], v[85:86], s[16:17], v[157:158]
	;; [unrolled: 1-line block ×9, first 2 shown]
	v_add_f64 v[59:60], v[0:1], v[87:88]
	v_add_f64 v[85:86], v[2:3], v[95:96]
	;; [unrolled: 1-line block ×108, first 2 shown]
	ds_write_b128 v46, v[0:3] offset:176
	ds_write_b128 v46, v[12:15] offset:352
	;; [unrolled: 1-line block ×10, first 2 shown]
	ds_write_b128 v46, v[47:50]
	s_waitcnt lgkmcnt(0)
	s_barrier
	buffer_gl0_inv
	s_and_saveexec_b32 s3, s0
	s_cbranch_execz .LBB0_9
; %bb.8:
	s_load_dwordx2 s[4:5], s[4:5], 0x60
	v_mad_u64_u32 v[0:1], null, s12, v45, 0
	v_lshlrev_b32_e32 v3, 4, v44
	s_mul_i32 s3, s13, s47
	s_mul_hi_u32 s9, s12, s47
	s_mul_i32 s8, s12, s47
	s_add_i32 s9, s9, s3
	s_mul_i32 s7, s7, s33
	v_mad_u64_u32 v[1:2], null, s13, v45, v[1:2]
	v_mul_u32_u24_e32 v2, 0x790, v45
	s_mul_hi_u32 s10, s6, s33
	v_mul_lo_u32 v20, s2, v44
	s_lshl_b64 s[8:9], s[8:9], 4
	s_mul_i32 s0, s46, s14
	v_add3_u32 v28, 0, v2, v3
	s_add_i32 s7, s10, s7
	v_mov_b32_e32 v21, 0
	s_mul_i32 s6, s6, s33
	s_waitcnt lgkmcnt(0)
	s_add_u32 s3, s4, s8
	s_addc_u32 s4, s5, s9
	s_lshl_b64 s[0:1], s[0:1], 4
	v_lshlrev_b64 v[8:9], 4, v[0:1]
	ds_read_b128 v[0:3], v28
	ds_read_b128 v[4:7], v28 offset:176
	s_add_u32 s3, s3, s0
	s_mul_i32 s2, s2, 11
	s_addc_u32 s4, s4, s1
	s_lshl_b64 s[0:1], s[6:7], 4
	v_lshlrev_b64 v[10:11], 4, v[20:21]
	v_add_nc_u32_e32 v20, s2, v20
	s_add_u32 s0, s3, s0
	s_addc_u32 s1, s4, s1
	v_add_co_u32 v30, vcc_lo, s0, v8
	v_add_co_ci_u32_e32 v31, vcc_lo, s1, v9, vcc_lo
	v_lshlrev_b64 v[8:9], 4, v[20:21]
	v_add_nc_u32_e32 v20, s2, v20
	v_add_co_u32 v10, vcc_lo, v30, v10
	v_add_co_ci_u32_e32 v11, vcc_lo, v31, v11, vcc_lo
	v_lshlrev_b64 v[12:13], 4, v[20:21]
	v_add_co_u32 v8, vcc_lo, v30, v8
	v_add_co_ci_u32_e32 v9, vcc_lo, v31, v9, vcc_lo
	v_add_nc_u32_e32 v20, s2, v20
	v_add_co_u32 v18, vcc_lo, v30, v12
	s_waitcnt lgkmcnt(1)
	global_store_dwordx4 v[10:11], v[0:3], off
	s_waitcnt lgkmcnt(0)
	global_store_dwordx4 v[8:9], v[4:7], off
	v_add_co_ci_u32_e32 v19, vcc_lo, v31, v13, vcc_lo
	v_lshlrev_b64 v[16:17], 4, v[20:21]
	v_add_nc_u32_e32 v20, s2, v20
	ds_read_b128 v[0:3], v28 offset:352
	ds_read_b128 v[4:7], v28 offset:528
	;; [unrolled: 1-line block ×4, first 2 shown]
	v_lshlrev_b64 v[22:23], 4, v[20:21]
	v_add_nc_u32_e32 v20, s2, v20
	v_add_co_u32 v16, vcc_lo, v30, v16
	v_add_co_ci_u32_e32 v17, vcc_lo, v31, v17, vcc_lo
	v_lshlrev_b64 v[24:25], 4, v[20:21]
	v_add_nc_u32_e32 v20, s2, v20
	v_add_co_u32 v22, vcc_lo, v30, v22
	v_add_co_ci_u32_e32 v23, vcc_lo, v31, v23, vcc_lo
	v_lshlrev_b64 v[26:27], 4, v[20:21]
	v_add_nc_u32_e32 v20, s2, v20
	v_add_co_u32 v24, vcc_lo, v30, v24
	v_add_co_ci_u32_e32 v25, vcc_lo, v31, v25, vcc_lo
	s_waitcnt lgkmcnt(3)
	global_store_dwordx4 v[18:19], v[0:3], off
	s_waitcnt lgkmcnt(2)
	global_store_dwordx4 v[16:17], v[4:7], off
	s_waitcnt lgkmcnt(1)
	global_store_dwordx4 v[22:23], v[8:11], off
	s_waitcnt lgkmcnt(0)
	global_store_dwordx4 v[24:25], v[12:15], off
	v_lshlrev_b64 v[8:9], 4, v[20:21]
	v_add_co_u32 v22, vcc_lo, v30, v26
	v_add_nc_u32_e32 v20, s2, v20
	v_add_co_ci_u32_e32 v23, vcc_lo, v31, v27, vcc_lo
	v_add_co_u32 v26, vcc_lo, v30, v8
	ds_read_b128 v[0:3], v28 offset:1056
	ds_read_b128 v[4:7], v28 offset:1232
	v_add_co_ci_u32_e32 v27, vcc_lo, v31, v9, vcc_lo
	ds_read_b128 v[8:11], v28 offset:1408
	ds_read_b128 v[12:15], v28 offset:1584
	;; [unrolled: 1-line block ×3, first 2 shown]
	v_lshlrev_b64 v[24:25], 4, v[20:21]
	v_add_nc_u32_e32 v20, s2, v20
	v_lshlrev_b64 v[28:29], 4, v[20:21]
	v_add_nc_u32_e32 v20, s2, v20
	v_add_co_u32 v24, vcc_lo, v30, v24
	v_add_co_ci_u32_e32 v25, vcc_lo, v31, v25, vcc_lo
	v_lshlrev_b64 v[20:21], 4, v[20:21]
	v_add_co_u32 v28, vcc_lo, v30, v28
	v_add_co_ci_u32_e32 v29, vcc_lo, v31, v29, vcc_lo
	v_add_co_u32 v20, vcc_lo, v30, v20
	v_add_co_ci_u32_e32 v21, vcc_lo, v31, v21, vcc_lo
	s_waitcnt lgkmcnt(4)
	global_store_dwordx4 v[22:23], v[0:3], off
	s_waitcnt lgkmcnt(3)
	global_store_dwordx4 v[26:27], v[4:7], off
	;; [unrolled: 2-line block ×5, first 2 shown]
.LBB0_9:
	s_endpgm
	.section	.rodata,"a",@progbits
	.p2align	6, 0x0
	.amdhsa_kernel fft_rtc_back_len121_factors_11_11_wgs_121_tpt_11_dp_op_CI_CI_sbrc_z_xy_unaligned
		.amdhsa_group_segment_fixed_size 0
		.amdhsa_private_segment_fixed_size 0
		.amdhsa_kernarg_size 104
		.amdhsa_user_sgpr_count 6
		.amdhsa_user_sgpr_private_segment_buffer 1
		.amdhsa_user_sgpr_dispatch_ptr 0
		.amdhsa_user_sgpr_queue_ptr 0
		.amdhsa_user_sgpr_kernarg_segment_ptr 1
		.amdhsa_user_sgpr_dispatch_id 0
		.amdhsa_user_sgpr_flat_scratch_init 0
		.amdhsa_user_sgpr_private_segment_size 0
		.amdhsa_wavefront_size32 1
		.amdhsa_uses_dynamic_stack 0
		.amdhsa_system_sgpr_private_segment_wavefront_offset 0
		.amdhsa_system_sgpr_workgroup_id_x 1
		.amdhsa_system_sgpr_workgroup_id_y 0
		.amdhsa_system_sgpr_workgroup_id_z 0
		.amdhsa_system_sgpr_workgroup_info 0
		.amdhsa_system_vgpr_workitem_id 0
		.amdhsa_next_free_vgpr 238
		.amdhsa_next_free_sgpr 48
		.amdhsa_reserve_vcc 1
		.amdhsa_reserve_flat_scratch 0
		.amdhsa_float_round_mode_32 0
		.amdhsa_float_round_mode_16_64 0
		.amdhsa_float_denorm_mode_32 3
		.amdhsa_float_denorm_mode_16_64 3
		.amdhsa_dx10_clamp 1
		.amdhsa_ieee_mode 1
		.amdhsa_fp16_overflow 0
		.amdhsa_workgroup_processor_mode 1
		.amdhsa_memory_ordered 1
		.amdhsa_forward_progress 0
		.amdhsa_shared_vgpr_count 0
		.amdhsa_exception_fp_ieee_invalid_op 0
		.amdhsa_exception_fp_denorm_src 0
		.amdhsa_exception_fp_ieee_div_zero 0
		.amdhsa_exception_fp_ieee_overflow 0
		.amdhsa_exception_fp_ieee_underflow 0
		.amdhsa_exception_fp_ieee_inexact 0
		.amdhsa_exception_int_div_zero 0
	.end_amdhsa_kernel
	.text
.Lfunc_end0:
	.size	fft_rtc_back_len121_factors_11_11_wgs_121_tpt_11_dp_op_CI_CI_sbrc_z_xy_unaligned, .Lfunc_end0-fft_rtc_back_len121_factors_11_11_wgs_121_tpt_11_dp_op_CI_CI_sbrc_z_xy_unaligned
                                        ; -- End function
	.section	.AMDGPU.csdata,"",@progbits
; Kernel info:
; codeLenInByte = 7776
; NumSgprs: 50
; NumVgprs: 238
; ScratchSize: 0
; MemoryBound: 0
; FloatMode: 240
; IeeeMode: 1
; LDSByteSize: 0 bytes/workgroup (compile time only)
; SGPRBlocks: 6
; VGPRBlocks: 29
; NumSGPRsForWavesPerEU: 50
; NumVGPRsForWavesPerEU: 238
; Occupancy: 4
; WaveLimiterHint : 1
; COMPUTE_PGM_RSRC2:SCRATCH_EN: 0
; COMPUTE_PGM_RSRC2:USER_SGPR: 6
; COMPUTE_PGM_RSRC2:TRAP_HANDLER: 0
; COMPUTE_PGM_RSRC2:TGID_X_EN: 1
; COMPUTE_PGM_RSRC2:TGID_Y_EN: 0
; COMPUTE_PGM_RSRC2:TGID_Z_EN: 0
; COMPUTE_PGM_RSRC2:TIDIG_COMP_CNT: 0
	.text
	.p2alignl 6, 3214868480
	.fill 48, 4, 3214868480
	.type	__hip_cuid_cf375954e8b47dd5,@object ; @__hip_cuid_cf375954e8b47dd5
	.section	.bss,"aw",@nobits
	.globl	__hip_cuid_cf375954e8b47dd5
__hip_cuid_cf375954e8b47dd5:
	.byte	0                               ; 0x0
	.size	__hip_cuid_cf375954e8b47dd5, 1

	.ident	"AMD clang version 19.0.0git (https://github.com/RadeonOpenCompute/llvm-project roc-6.4.0 25133 c7fe45cf4b819c5991fe208aaa96edf142730f1d)"
	.section	".note.GNU-stack","",@progbits
	.addrsig
	.addrsig_sym __hip_cuid_cf375954e8b47dd5
	.amdgpu_metadata
---
amdhsa.kernels:
  - .args:
      - .actual_access:  read_only
        .address_space:  global
        .offset:         0
        .size:           8
        .value_kind:     global_buffer
      - .offset:         8
        .size:           8
        .value_kind:     by_value
      - .actual_access:  read_only
        .address_space:  global
        .offset:         16
        .size:           8
        .value_kind:     global_buffer
      - .actual_access:  read_only
        .address_space:  global
        .offset:         24
        .size:           8
        .value_kind:     global_buffer
      - .actual_access:  read_only
        .address_space:  global
        .offset:         32
        .size:           8
        .value_kind:     global_buffer
      - .offset:         40
        .size:           8
        .value_kind:     by_value
      - .actual_access:  read_only
        .address_space:  global
        .offset:         48
        .size:           8
        .value_kind:     global_buffer
      - .actual_access:  read_only
        .address_space:  global
        .offset:         56
        .size:           8
        .value_kind:     global_buffer
      - .offset:         64
        .size:           4
        .value_kind:     by_value
      - .actual_access:  read_only
        .address_space:  global
        .offset:         72
        .size:           8
        .value_kind:     global_buffer
      - .actual_access:  read_only
        .address_space:  global
        .offset:         80
        .size:           8
        .value_kind:     global_buffer
      - .actual_access:  read_only
        .address_space:  global
        .offset:         88
        .size:           8
        .value_kind:     global_buffer
      - .actual_access:  write_only
        .address_space:  global
        .offset:         96
        .size:           8
        .value_kind:     global_buffer
    .group_segment_fixed_size: 0
    .kernarg_segment_align: 8
    .kernarg_segment_size: 104
    .language:       OpenCL C
    .language_version:
      - 2
      - 0
    .max_flat_workgroup_size: 121
    .name:           fft_rtc_back_len121_factors_11_11_wgs_121_tpt_11_dp_op_CI_CI_sbrc_z_xy_unaligned
    .private_segment_fixed_size: 0
    .sgpr_count:     50
    .sgpr_spill_count: 0
    .symbol:         fft_rtc_back_len121_factors_11_11_wgs_121_tpt_11_dp_op_CI_CI_sbrc_z_xy_unaligned.kd
    .uniform_work_group_size: 1
    .uses_dynamic_stack: false
    .vgpr_count:     238
    .vgpr_spill_count: 0
    .wavefront_size: 32
    .workgroup_processor_mode: 1
amdhsa.target:   amdgcn-amd-amdhsa--gfx1030
amdhsa.version:
  - 1
  - 2
...

	.end_amdgpu_metadata
